;; amdgpu-corpus repo=ROCm/rocFFT kind=compiled arch=gfx906 opt=O3
	.text
	.amdgcn_target "amdgcn-amd-amdhsa--gfx906"
	.amdhsa_code_object_version 6
	.protected	fft_rtc_fwd_len616_factors_11_7_8_wgs_88_tpt_88_half_op_CI_CI_unitstride_sbrr_C2R_dirReg ; -- Begin function fft_rtc_fwd_len616_factors_11_7_8_wgs_88_tpt_88_half_op_CI_CI_unitstride_sbrr_C2R_dirReg
	.globl	fft_rtc_fwd_len616_factors_11_7_8_wgs_88_tpt_88_half_op_CI_CI_unitstride_sbrr_C2R_dirReg
	.p2align	8
	.type	fft_rtc_fwd_len616_factors_11_7_8_wgs_88_tpt_88_half_op_CI_CI_unitstride_sbrr_C2R_dirReg,@function
fft_rtc_fwd_len616_factors_11_7_8_wgs_88_tpt_88_half_op_CI_CI_unitstride_sbrr_C2R_dirReg: ; @fft_rtc_fwd_len616_factors_11_7_8_wgs_88_tpt_88_half_op_CI_CI_unitstride_sbrr_C2R_dirReg
; %bb.0:
	s_load_dwordx4 s[8:11], s[4:5], 0x58
	s_load_dwordx4 s[12:15], s[4:5], 0x0
	;; [unrolled: 1-line block ×3, first 2 shown]
	v_mul_u32_u24_e32 v1, 0x2e9, v0
	v_mov_b32_e32 v8, 0
	v_mov_b32_e32 v6, 0
	s_waitcnt lgkmcnt(0)
	v_cmp_lt_u64_e64 s[0:1], s[14:15], 2
	v_add_u32_sdwa v10, s6, v1 dst_sel:DWORD dst_unused:UNUSED_PAD src0_sel:DWORD src1_sel:WORD_1
	v_mov_b32_e32 v11, v8
	s_and_b64 vcc, exec, s[0:1]
	v_mov_b32_e32 v7, 0
	s_cbranch_vccnz .LBB0_8
; %bb.1:
	s_load_dwordx2 s[0:1], s[4:5], 0x10
	s_add_u32 s2, s18, 8
	s_addc_u32 s3, s19, 0
	s_add_u32 s6, s16, 8
	s_addc_u32 s7, s17, 0
	v_mov_b32_e32 v6, 0
	s_waitcnt lgkmcnt(0)
	s_add_u32 s20, s0, 8
	v_mov_b32_e32 v7, 0
	v_mov_b32_e32 v1, v6
	s_addc_u32 s21, s1, 0
	s_mov_b64 s[22:23], 1
	v_mov_b32_e32 v2, v7
.LBB0_2:                                ; =>This Inner Loop Header: Depth=1
	s_load_dwordx2 s[24:25], s[20:21], 0x0
                                        ; implicit-def: $vgpr3_vgpr4
	s_waitcnt lgkmcnt(0)
	v_or_b32_e32 v9, s25, v11
	v_cmp_ne_u64_e32 vcc, 0, v[8:9]
	s_and_saveexec_b64 s[0:1], vcc
	s_xor_b64 s[26:27], exec, s[0:1]
	s_cbranch_execz .LBB0_4
; %bb.3:                                ;   in Loop: Header=BB0_2 Depth=1
	v_cvt_f32_u32_e32 v3, s24
	v_cvt_f32_u32_e32 v4, s25
	s_sub_u32 s0, 0, s24
	s_subb_u32 s1, 0, s25
	v_mac_f32_e32 v3, 0x4f800000, v4
	v_rcp_f32_e32 v3, v3
	v_mul_f32_e32 v3, 0x5f7ffffc, v3
	v_mul_f32_e32 v4, 0x2f800000, v3
	v_trunc_f32_e32 v4, v4
	v_mac_f32_e32 v3, 0xcf800000, v4
	v_cvt_u32_f32_e32 v4, v4
	v_cvt_u32_f32_e32 v3, v3
	v_mul_lo_u32 v5, s0, v4
	v_mul_hi_u32 v9, s0, v3
	v_mul_lo_u32 v13, s1, v3
	v_mul_lo_u32 v12, s0, v3
	v_add_u32_e32 v5, v9, v5
	v_add_u32_e32 v5, v5, v13
	v_mul_hi_u32 v9, v3, v12
	v_mul_lo_u32 v13, v3, v5
	v_mul_hi_u32 v15, v3, v5
	v_mul_hi_u32 v14, v4, v12
	v_mul_lo_u32 v12, v4, v12
	v_mul_hi_u32 v16, v4, v5
	v_add_co_u32_e32 v9, vcc, v9, v13
	v_addc_co_u32_e32 v13, vcc, 0, v15, vcc
	v_mul_lo_u32 v5, v4, v5
	v_add_co_u32_e32 v9, vcc, v9, v12
	v_addc_co_u32_e32 v9, vcc, v13, v14, vcc
	v_addc_co_u32_e32 v12, vcc, 0, v16, vcc
	v_add_co_u32_e32 v5, vcc, v9, v5
	v_addc_co_u32_e32 v9, vcc, 0, v12, vcc
	v_add_co_u32_e32 v3, vcc, v3, v5
	v_addc_co_u32_e32 v4, vcc, v4, v9, vcc
	v_mul_lo_u32 v5, s0, v4
	v_mul_hi_u32 v9, s0, v3
	v_mul_lo_u32 v12, s1, v3
	v_mul_lo_u32 v13, s0, v3
	v_add_u32_e32 v5, v9, v5
	v_add_u32_e32 v5, v5, v12
	v_mul_lo_u32 v14, v3, v5
	v_mul_hi_u32 v15, v3, v13
	v_mul_hi_u32 v16, v3, v5
	v_mul_hi_u32 v12, v4, v13
	v_mul_lo_u32 v13, v4, v13
	v_mul_hi_u32 v9, v4, v5
	v_add_co_u32_e32 v14, vcc, v15, v14
	v_addc_co_u32_e32 v15, vcc, 0, v16, vcc
	v_mul_lo_u32 v5, v4, v5
	v_add_co_u32_e32 v13, vcc, v14, v13
	v_addc_co_u32_e32 v12, vcc, v15, v12, vcc
	v_addc_co_u32_e32 v9, vcc, 0, v9, vcc
	v_add_co_u32_e32 v5, vcc, v12, v5
	v_addc_co_u32_e32 v9, vcc, 0, v9, vcc
	v_add_co_u32_e32 v5, vcc, v3, v5
	v_addc_co_u32_e32 v9, vcc, v4, v9, vcc
	v_mad_u64_u32 v[3:4], s[0:1], v10, v9, 0
	v_mul_hi_u32 v12, v10, v5
	v_add_co_u32_e32 v14, vcc, v12, v3
	v_addc_co_u32_e32 v15, vcc, 0, v4, vcc
	v_mad_u64_u32 v[3:4], s[0:1], v11, v5, 0
	v_mad_u64_u32 v[12:13], s[0:1], v11, v9, 0
	v_add_co_u32_e32 v3, vcc, v14, v3
	v_addc_co_u32_e32 v3, vcc, v15, v4, vcc
	v_addc_co_u32_e32 v4, vcc, 0, v13, vcc
	v_add_co_u32_e32 v5, vcc, v3, v12
	v_addc_co_u32_e32 v9, vcc, 0, v4, vcc
	v_mul_lo_u32 v12, s25, v5
	v_mul_lo_u32 v13, s24, v9
	v_mad_u64_u32 v[3:4], s[0:1], s24, v5, 0
	v_add3_u32 v4, v4, v13, v12
	v_sub_u32_e32 v12, v11, v4
	v_mov_b32_e32 v13, s25
	v_sub_co_u32_e32 v3, vcc, v10, v3
	v_subb_co_u32_e64 v12, s[0:1], v12, v13, vcc
	v_subrev_co_u32_e64 v13, s[0:1], s24, v3
	v_subbrev_co_u32_e64 v12, s[0:1], 0, v12, s[0:1]
	v_cmp_le_u32_e64 s[0:1], s25, v12
	v_cndmask_b32_e64 v14, 0, -1, s[0:1]
	v_cmp_le_u32_e64 s[0:1], s24, v13
	v_cndmask_b32_e64 v13, 0, -1, s[0:1]
	v_cmp_eq_u32_e64 s[0:1], s25, v12
	v_cndmask_b32_e64 v12, v14, v13, s[0:1]
	v_add_co_u32_e64 v13, s[0:1], 2, v5
	v_addc_co_u32_e64 v14, s[0:1], 0, v9, s[0:1]
	v_add_co_u32_e64 v15, s[0:1], 1, v5
	v_addc_co_u32_e64 v16, s[0:1], 0, v9, s[0:1]
	v_subb_co_u32_e32 v4, vcc, v11, v4, vcc
	v_cmp_ne_u32_e64 s[0:1], 0, v12
	v_cmp_le_u32_e32 vcc, s25, v4
	v_cndmask_b32_e64 v12, v16, v14, s[0:1]
	v_cndmask_b32_e64 v14, 0, -1, vcc
	v_cmp_le_u32_e32 vcc, s24, v3
	v_cndmask_b32_e64 v3, 0, -1, vcc
	v_cmp_eq_u32_e32 vcc, s25, v4
	v_cndmask_b32_e32 v3, v14, v3, vcc
	v_cmp_ne_u32_e32 vcc, 0, v3
	v_cndmask_b32_e64 v3, v15, v13, s[0:1]
	v_cndmask_b32_e32 v4, v9, v12, vcc
	v_cndmask_b32_e32 v3, v5, v3, vcc
.LBB0_4:                                ;   in Loop: Header=BB0_2 Depth=1
	s_andn2_saveexec_b64 s[0:1], s[26:27]
	s_cbranch_execz .LBB0_6
; %bb.5:                                ;   in Loop: Header=BB0_2 Depth=1
	v_cvt_f32_u32_e32 v3, s24
	s_sub_i32 s26, 0, s24
	v_rcp_iflag_f32_e32 v3, v3
	v_mul_f32_e32 v3, 0x4f7ffffe, v3
	v_cvt_u32_f32_e32 v3, v3
	v_mul_lo_u32 v4, s26, v3
	v_mul_hi_u32 v4, v3, v4
	v_add_u32_e32 v3, v3, v4
	v_mul_hi_u32 v3, v10, v3
	v_mul_lo_u32 v4, v3, s24
	v_add_u32_e32 v5, 1, v3
	v_sub_u32_e32 v4, v10, v4
	v_subrev_u32_e32 v9, s24, v4
	v_cmp_le_u32_e32 vcc, s24, v4
	v_cndmask_b32_e32 v4, v4, v9, vcc
	v_cndmask_b32_e32 v3, v3, v5, vcc
	v_add_u32_e32 v5, 1, v3
	v_cmp_le_u32_e32 vcc, s24, v4
	v_cndmask_b32_e32 v3, v3, v5, vcc
	v_mov_b32_e32 v4, v8
.LBB0_6:                                ;   in Loop: Header=BB0_2 Depth=1
	s_or_b64 exec, exec, s[0:1]
	v_mul_lo_u32 v5, v4, s24
	v_mul_lo_u32 v9, v3, s25
	v_mad_u64_u32 v[12:13], s[0:1], v3, s24, 0
	s_load_dwordx2 s[0:1], s[6:7], 0x0
	s_load_dwordx2 s[24:25], s[2:3], 0x0
	v_add3_u32 v5, v13, v9, v5
	v_sub_co_u32_e32 v9, vcc, v10, v12
	v_subb_co_u32_e32 v5, vcc, v11, v5, vcc
	s_waitcnt lgkmcnt(0)
	v_mul_lo_u32 v10, s0, v5
	v_mul_lo_u32 v11, s1, v9
	v_mad_u64_u32 v[6:7], s[0:1], s0, v9, v[6:7]
	s_add_u32 s22, s22, 1
	s_addc_u32 s23, s23, 0
	s_add_u32 s2, s2, 8
	v_mul_lo_u32 v5, s24, v5
	v_mul_lo_u32 v12, s25, v9
	v_mad_u64_u32 v[1:2], s[0:1], s24, v9, v[1:2]
	v_add3_u32 v7, v11, v7, v10
	s_addc_u32 s3, s3, 0
	v_mov_b32_e32 v9, s14
	s_add_u32 s6, s6, 8
	v_mov_b32_e32 v10, s15
	s_addc_u32 s7, s7, 0
	v_cmp_ge_u64_e32 vcc, s[22:23], v[9:10]
	s_add_u32 s20, s20, 8
	v_add3_u32 v2, v12, v2, v5
	s_addc_u32 s21, s21, 0
	s_cbranch_vccnz .LBB0_9
; %bb.7:                                ;   in Loop: Header=BB0_2 Depth=1
	v_mov_b32_e32 v11, v4
	v_mov_b32_e32 v10, v3
	s_branch .LBB0_2
.LBB0_8:
	v_mov_b32_e32 v1, v6
	v_mov_b32_e32 v3, v10
	;; [unrolled: 1-line block ×4, first 2 shown]
.LBB0_9:
	s_load_dwordx2 s[0:1], s[4:5], 0x28
	s_lshl_b64 s[6:7], s[14:15], 3
	s_add_u32 s2, s18, s6
	s_addc_u32 s3, s19, s7
                                        ; implicit-def: $vgpr5
	s_waitcnt lgkmcnt(0)
	v_cmp_gt_u64_e32 vcc, s[0:1], v[3:4]
	v_cmp_le_u64_e64 s[0:1], s[0:1], v[3:4]
	s_and_saveexec_b64 s[4:5], s[0:1]
	s_xor_b64 s[0:1], exec, s[4:5]
; %bb.10:
	s_mov_b32 s4, 0x2e8ba2f
	v_mul_hi_u32 v5, v0, s4
                                        ; implicit-def: $vgpr6_vgpr7
	v_mul_u32_u24_e32 v5, 0x58, v5
	v_sub_u32_e32 v5, v0, v5
                                        ; implicit-def: $vgpr0
; %bb.11:
	s_or_saveexec_b64 s[4:5], s[0:1]
	s_load_dwordx2 s[2:3], s[2:3], 0x0
	s_xor_b64 exec, exec, s[4:5]
	s_cbranch_execz .LBB0_15
; %bb.12:
	s_add_u32 s0, s16, s6
	s_addc_u32 s1, s17, s7
	s_load_dwordx2 s[0:1], s[0:1], 0x0
	s_mov_b32 s6, 0x2e8ba2f
	v_mul_hi_u32 v5, v0, s6
	v_lshlrev_b64 v[6:7], 2, v[6:7]
	s_waitcnt lgkmcnt(0)
	v_mul_lo_u32 v10, s1, v3
	v_mul_lo_u32 v11, s0, v4
	v_mad_u64_u32 v[8:9], s[0:1], s0, v3, 0
	v_mul_u32_u24_e32 v5, 0x58, v5
	v_sub_u32_e32 v5, v0, v5
	v_add3_u32 v9, v9, v11, v10
	v_lshlrev_b64 v[8:9], 2, v[8:9]
	v_mov_b32_e32 v0, s9
	v_add_co_u32_e64 v8, s[0:1], s8, v8
	v_addc_co_u32_e64 v0, s[0:1], v0, v9, s[0:1]
	v_add_co_u32_e64 v6, s[0:1], v8, v6
	v_addc_co_u32_e64 v7, s[0:1], v0, v7, s[0:1]
	v_lshlrev_b32_e32 v0, 2, v5
	v_add_co_u32_e64 v8, s[0:1], v6, v0
	v_addc_co_u32_e64 v9, s[0:1], 0, v7, s[0:1]
	global_load_dword v10, v[8:9], off
	global_load_dword v11, v[8:9], off offset:352
	global_load_dword v12, v[8:9], off offset:704
	;; [unrolled: 1-line block ×6, first 2 shown]
	s_movk_i32 s0, 0x57
	v_add_u32_e32 v0, 0, v0
	v_cmp_eq_u32_e64 s[0:1], s0, v5
	v_add_u32_e32 v8, 0x200, v0
	v_add_u32_e32 v9, 0x400, v0
	s_waitcnt vmcnt(5)
	ds_write2_b32 v0, v10, v11 offset1:88
	s_waitcnt vmcnt(3)
	ds_write2_b32 v8, v12, v13 offset0:48 offset1:136
	s_waitcnt vmcnt(1)
	ds_write2_b32 v9, v14, v15 offset0:96 offset1:184
	s_waitcnt vmcnt(0)
	ds_write_b32 v0, v16 offset:2112
	s_and_saveexec_b64 s[6:7], s[0:1]
	s_cbranch_execz .LBB0_14
; %bb.13:
	global_load_dword v0, v[6:7], off offset:2464
	v_mov_b32_e32 v5, 0
	s_waitcnt vmcnt(0)
	ds_write_b32 v5, v0 offset:2464
	v_mov_b32_e32 v5, 0x57
.LBB0_14:
	s_or_b64 exec, exec, s[6:7]
.LBB0_15:
	s_or_b64 exec, exec, s[4:5]
	v_lshlrev_b32_e32 v6, 2, v5
	v_add_u32_e32 v0, 0, v6
	s_waitcnt lgkmcnt(0)
	s_barrier
	v_sub_u32_e32 v8, 0, v6
	ds_read_u16 v6, v0
	ds_read_u16 v7, v8 offset:2464
	v_cmp_ne_u32_e64 s[0:1], 0, v5
	s_waitcnt lgkmcnt(0)
	v_add_f16_e32 v10, v7, v6
	v_sub_f16_e32 v9, v6, v7
                                        ; implicit-def: $vgpr6_vgpr7
	s_and_saveexec_b64 s[4:5], s[0:1]
	s_xor_b64 s[4:5], exec, s[4:5]
	s_cbranch_execz .LBB0_17
; %bb.16:
	v_mov_b32_e32 v6, 0
	v_lshlrev_b64 v[11:12], 2, v[5:6]
	v_mov_b32_e32 v7, s13
	v_add_co_u32_e64 v11, s[0:1], s12, v11
	v_addc_co_u32_e64 v12, s[0:1], v7, v12, s[0:1]
	global_load_dword v7, v[11:12], off offset:2420
	ds_read_u16 v11, v8 offset:2466
	ds_read_u16 v12, v0 offset:2
	s_waitcnt lgkmcnt(0)
	v_add_f16_e32 v13, v11, v12
	v_sub_f16_e32 v11, v12, v11
	s_waitcnt vmcnt(0)
	v_lshrrev_b32_e32 v12, 16, v7
	v_fma_f16 v14, v9, v12, v10
	v_fma_f16 v15, v13, v12, v11
	v_fma_f16 v10, -v9, v12, v10
	v_fma_f16 v11, v13, v12, -v11
	v_fma_f16 v12, -v7, v13, v14
	v_fma_f16 v14, v9, v7, v15
	v_fma_f16 v10, v7, v13, v10
	;; [unrolled: 1-line block ×3, first 2 shown]
	v_pack_b32_f16 v9, v12, v14
	v_pack_b32_f16 v7, v10, v7
	ds_write_b32 v0, v9
	ds_write_b32 v8, v7 offset:2464
	v_mov_b32_e32 v7, v6
	v_mov_b32_e32 v6, v5
                                        ; implicit-def: $vgpr10
                                        ; implicit-def: $vgpr9
.LBB0_17:
	s_andn2_saveexec_b64 s[0:1], s[4:5]
	s_cbranch_execz .LBB0_19
; %bb.18:
	v_pack_b32_f16 v6, v10, v9
	ds_write_b32 v0, v6
	v_mov_b32_e32 v9, 0
	ds_read_b32 v6, v9 offset:1232
	s_mov_b32 s4, 0xc0004000
	s_waitcnt lgkmcnt(0)
	v_pk_mul_f16 v10, v6, s4
	v_mov_b32_e32 v6, 0
	v_mov_b32_e32 v7, 0
	ds_write_b32 v9, v10 offset:1232
.LBB0_19:
	s_or_b64 exec, exec, s[0:1]
	s_add_u32 s0, s12, 0x974
	v_lshlrev_b64 v[6:7], 2, v[6:7]
	s_addc_u32 s1, s13, 0
	v_mov_b32_e32 v9, s1
	v_add_co_u32_e64 v6, s[0:1], s0, v6
	v_addc_co_u32_e64 v7, s[0:1], v9, v7, s[0:1]
	global_load_dword v9, v[6:7], off offset:352
	global_load_dword v10, v[6:7], off offset:704
	ds_read_b32 v11, v0 offset:352
	ds_read_b32 v12, v8 offset:2112
	v_cmp_gt_u32_e64 s[0:1], 44, v5
	s_waitcnt lgkmcnt(0)
	v_add_f16_e32 v13, v11, v12
	v_add_f16_sdwa v14, v12, v11 dst_sel:DWORD dst_unused:UNUSED_PAD src0_sel:WORD_1 src1_sel:WORD_1
	v_sub_f16_e32 v15, v11, v12
	v_sub_f16_sdwa v11, v11, v12 dst_sel:DWORD dst_unused:UNUSED_PAD src0_sel:WORD_1 src1_sel:WORD_1
	s_waitcnt vmcnt(1)
	v_lshrrev_b32_e32 v12, 16, v9
	v_fma_f16 v16, v15, v12, v13
	v_fma_f16 v17, v14, v12, v11
	v_fma_f16 v13, -v15, v12, v13
	v_fma_f16 v11, v14, v12, -v11
	v_fma_f16 v12, -v9, v14, v16
	v_fma_f16 v16, v15, v9, v17
	v_fma_f16 v13, v9, v14, v13
	;; [unrolled: 1-line block ×3, first 2 shown]
	v_pack_b32_f16 v11, v12, v16
	v_pack_b32_f16 v9, v13, v9
	ds_write_b32 v0, v11 offset:352
	ds_write_b32 v8, v9 offset:2112
	ds_read_b32 v9, v0 offset:704
	ds_read_b32 v11, v8 offset:1760
	s_waitcnt vmcnt(0)
	v_lshrrev_b32_e32 v12, 16, v10
	s_waitcnt lgkmcnt(0)
	v_add_f16_e32 v13, v9, v11
	v_add_f16_sdwa v14, v11, v9 dst_sel:DWORD dst_unused:UNUSED_PAD src0_sel:WORD_1 src1_sel:WORD_1
	v_sub_f16_e32 v15, v9, v11
	v_sub_f16_sdwa v9, v9, v11 dst_sel:DWORD dst_unused:UNUSED_PAD src0_sel:WORD_1 src1_sel:WORD_1
	v_fma_f16 v11, v15, v12, v13
	v_fma_f16 v16, v14, v12, v9
	v_fma_f16 v13, -v15, v12, v13
	v_fma_f16 v9, v14, v12, -v9
	v_fma_f16 v11, -v10, v14, v11
	v_fma_f16 v12, v15, v10, v16
	v_fma_f16 v13, v10, v14, v13
	;; [unrolled: 1-line block ×3, first 2 shown]
	v_pack_b32_f16 v10, v11, v12
	v_pack_b32_f16 v9, v13, v9
	ds_write_b32 v0, v10 offset:704
	ds_write_b32 v8, v9 offset:1760
	s_and_saveexec_b64 s[4:5], s[0:1]
	s_cbranch_execz .LBB0_21
; %bb.20:
	global_load_dword v6, v[6:7], off offset:1056
	ds_read_b32 v7, v0 offset:1056
	ds_read_b32 v9, v8 offset:1408
	s_waitcnt lgkmcnt(0)
	v_add_f16_e32 v10, v7, v9
	v_add_f16_sdwa v11, v9, v7 dst_sel:DWORD dst_unused:UNUSED_PAD src0_sel:WORD_1 src1_sel:WORD_1
	v_sub_f16_e32 v12, v7, v9
	v_sub_f16_sdwa v7, v7, v9 dst_sel:DWORD dst_unused:UNUSED_PAD src0_sel:WORD_1 src1_sel:WORD_1
	s_waitcnt vmcnt(0)
	v_lshrrev_b32_e32 v9, 16, v6
	v_fma_f16 v13, v12, v9, v10
	v_fma_f16 v14, v11, v9, v7
	v_fma_f16 v10, -v12, v9, v10
	v_fma_f16 v7, v11, v9, -v7
	v_fma_f16 v9, -v6, v11, v13
	v_fma_f16 v13, v12, v6, v14
	v_fma_f16 v10, v6, v11, v10
	;; [unrolled: 1-line block ×3, first 2 shown]
	v_pack_b32_f16 v7, v9, v13
	v_pack_b32_f16 v6, v10, v6
	ds_write_b32 v0, v7 offset:1056
	ds_write_b32 v8, v6 offset:1408
.LBB0_21:
	s_or_b64 exec, exec, s[4:5]
	s_waitcnt lgkmcnt(0)
	s_barrier
	s_barrier
	ds_read2_b32 v[8:9], v0 offset1:56
	ds_read2_b32 v[14:15], v0 offset0:112 offset1:168
	ds_read_b32 v37, v0 offset:2240
	v_add_u32_e32 v19, 0x400, v0
	v_add_u32_e32 v6, 0x200, v0
	ds_read2_b32 v[10:11], v19 offset0:192 offset1:248
	ds_read2_b32 v[16:17], v6 offset0:96 offset1:152
	;; [unrolled: 1-line block ×3, first 2 shown]
	s_mov_b32 s6, 0xba0c
	s_waitcnt lgkmcnt(3)
	v_pk_add_f16 v22, v9, v37 neg_lo:[0,1] neg_hi:[0,1]
	v_pk_add_f16 v25, v37, v9
	s_waitcnt lgkmcnt(2)
	v_pk_add_f16 v20, v14, v11 neg_lo:[0,1] neg_hi:[0,1]
	v_pk_mul_f16 v7, v22, s6 op_sel_hi:[1,0]
	s_mov_b32 s8, 0xb93d
	s_movk_i32 s0, 0x3beb
	v_pk_add_f16 v24, v11, v14
	v_pk_add_f16 v21, v15, v10 neg_lo:[0,1] neg_hi:[0,1]
	v_pk_fma_f16 v30, v25, s8, v7 op_sel:[0,0,1] op_sel_hi:[1,0,0]
	v_pk_fma_f16 v31, v25, s8, v7 op_sel:[0,0,1] op_sel_hi:[1,0,0] neg_lo:[0,0,1] neg_hi:[0,0,1]
	v_pk_mul_f16 v7, v20, s0 op_sel_hi:[1,0]
	s_mov_b32 s7, 0xb08e
	s_mov_b32 s18, 0xb853
	v_pk_add_f16 v23, v10, v15
	v_pk_fma_f16 v32, v24, s7, v7 op_sel:[0,0,1] op_sel_hi:[1,0,0]
	v_pk_fma_f16 v33, v24, s7, v7 op_sel:[0,0,1] op_sel_hi:[1,0,0] neg_lo:[0,0,1] neg_hi:[0,0,1]
	v_pk_mul_f16 v7, v21, s18 op_sel_hi:[1,0]
	s_movk_i32 s15, 0x3abb
	s_mov_b32 s9, 0xb482
	s_waitcnt lgkmcnt(0)
	v_pk_add_f16 v26, v16, v13 neg_lo:[0,1] neg_hi:[0,1]
	s_movk_i32 s14, 0x3b47
	v_pk_add_f16 v27, v17, v12 neg_lo:[0,1] neg_hi:[0,1]
	v_pk_fma_f16 v36, v23, s15, v7 op_sel:[0,0,1] op_sel_hi:[1,0,0]
	v_pk_fma_f16 v38, v23, s15, v7 op_sel:[0,0,1] op_sel_hi:[1,0,0] neg_lo:[0,0,1] neg_hi:[0,0,1]
	s_mov_b32 s17, 0xbbad
	v_pk_add_f16 v28, v13, v16
	v_pk_mul_f16 v7, v26, s9 op_sel_hi:[1,0]
	s_movk_i32 s16, 0x36a6
	v_pk_add_f16 v29, v12, v17
	v_pk_mul_f16 v18, v27, s14 op_sel_hi:[1,0]
	v_pk_fma_f16 v39, v28, s17, v7 op_sel:[0,0,1] op_sel_hi:[1,0,0]
	v_pk_fma_f16 v40, v28, s17, v7 op_sel:[0,0,1] op_sel_hi:[1,0,0] neg_lo:[0,0,1] neg_hi:[0,0,1]
	v_add_f16_e32 v7, v8, v30
	v_pk_fma_f16 v41, v29, s16, v18 op_sel:[0,0,1] op_sel_hi:[1,0,0]
	v_pk_fma_f16 v42, v29, s16, v18 op_sel:[0,0,1] op_sel_hi:[1,0,0] neg_lo:[0,0,1] neg_hi:[0,0,1]
	v_add_f16_sdwa v18, v8, v31 dst_sel:DWORD dst_unused:UNUSED_PAD src0_sel:WORD_1 src1_sel:WORD_1
	v_add_f16_e32 v7, v32, v7
	v_add_f16_sdwa v18, v33, v18 dst_sel:DWORD dst_unused:UNUSED_PAD src0_sel:WORD_1 src1_sel:DWORD
	v_add_f16_e32 v7, v36, v7
	v_add_f16_sdwa v18, v38, v18 dst_sel:DWORD dst_unused:UNUSED_PAD src0_sel:WORD_1 src1_sel:DWORD
	v_add_f16_e32 v7, v39, v7
	v_add_f16_sdwa v18, v40, v18 dst_sel:DWORD dst_unused:UNUSED_PAD src0_sel:WORD_1 src1_sel:DWORD
	v_add_f16_sdwa v18, v42, v18 dst_sel:DWORD dst_unused:UNUSED_PAD src0_sel:WORD_1 src1_sel:DWORD
	v_cmp_gt_u32_e64 s[0:1], 56, v5
	v_add_f16_e32 v7, v41, v7
	s_barrier
	s_and_saveexec_b64 s[4:5], s[0:1]
	s_cbranch_execz .LBB0_23
; %bb.22:
	s_mov_b32 s0, 0xffff
	v_bfi_b32 v35, s0, v33, v32
	v_bfi_b32 v33, s0, v38, v36
	;; [unrolled: 1-line block ×3, first 2 shown]
	v_mul_f16_e32 v38, 0xbbeb, v22
	v_lshrrev_b32_e32 v39, 16, v25
	v_bfi_b32 v34, s0, v31, v30
	v_bfi_b32 v31, s0, v42, v41
	v_fma_f16 v30, v39, s7, v38
	v_mul_f16_e32 v40, 0x3482, v20
	v_lshrrev_b32_e32 v41, 16, v24
	v_pk_add_f16 v9, v8, v9
	s_mov_b32 s1, 0xbbeb
	v_add_f16_sdwa v30, v8, v30 dst_sel:DWORD dst_unused:UNUSED_PAD src0_sel:WORD_1 src1_sel:DWORD
	v_fma_f16 v36, v41, s17, v40
	v_mul_f16_e32 v42, 0x3b47, v21
	v_lshrrev_b32_e32 v43, 16, v23
	v_pk_add_f16 v9, v9, v14
	s_movk_i32 s19, 0x3482
	v_add_f16_e32 v30, v36, v30
	v_fma_f16 v36, v43, s16, v42
	v_mul_f16_e32 v44, 0xb853, v26
	v_lshrrev_b32_e32 v45, 16, v28
	v_pk_add_f16 v9, v9, v15
	v_mul_f16_sdwa v14, v22, s1 dst_sel:DWORD dst_unused:UNUSED_PAD src0_sel:WORD_1 src1_sel:DWORD
	v_add_f16_e32 v30, v36, v30
	v_fma_f16 v36, v45, s15, v44
	v_lshrrev_b32_e32 v46, 16, v29
	v_fma_f16 v15, v25, s7, -v14
	v_pk_add_f16 v9, v9, v16
	v_mul_f16_sdwa v16, v20, s19 dst_sel:DWORD dst_unused:UNUSED_PAD src0_sel:WORD_1 src1_sel:DWORD
	v_add_f16_e32 v36, v36, v30
	v_mul_f16_e32 v30, 0xb93d, v46
	v_add_f16_e32 v15, v8, v15
	v_pk_add_f16 v9, v9, v17
	v_fma_f16 v17, v24, s17, -v16
	v_fma_f16 v47, v27, s6, v30
	v_add_f16_e32 v15, v17, v15
	v_mul_f16_sdwa v17, v21, s14 dst_sel:DWORD dst_unused:UNUSED_PAD src0_sel:WORD_1 src1_sel:DWORD
	v_add_f16_e32 v36, v47, v36
	v_fma_f16 v47, v23, s16, -v17
	v_pk_add_f16 v9, v9, v12
	v_mul_f16_sdwa v12, v26, s18 dst_sel:DWORD dst_unused:UNUSED_PAD src0_sel:WORD_1 src1_sel:DWORD
	v_add_f16_e32 v15, v47, v15
	v_pk_add_f16 v9, v9, v13
	v_fma_f16 v13, v28, s15, -v12
	v_add_f16_e32 v13, v13, v15
	v_mul_f16_sdwa v15, v27, s6 dst_sel:DWORD dst_unused:UNUSED_PAD src0_sel:WORD_1 src1_sel:DWORD
	v_fma_f16 v47, v29, s8, -v15
	v_add_f16_e32 v13, v47, v13
	v_mul_f16_e32 v47, 0xbb47, v22
	v_fma_f16 v48, v39, s16, v47
	v_mul_f16_e32 v49, 0xba0c, v20
	v_fma_f16 v14, v25, s7, v14
	v_add_f16_sdwa v48, v8, v48 dst_sel:DWORD dst_unused:UNUSED_PAD src0_sel:WORD_1 src1_sel:DWORD
	v_fma_f16 v50, v41, s8, v49
	v_add_f16_e32 v14, v8, v14
	v_fma_f16 v16, v24, s17, v16
	v_add_f16_e32 v48, v50, v48
	v_mul_f16_e32 v50, 0x3482, v21
	v_add_f16_e32 v14, v16, v14
	v_fma_f16 v16, v23, s16, v17
	v_fma_f16 v51, v43, s17, v50
	v_add_f16_e32 v14, v16, v14
	v_fma_f16 v12, v28, s15, v12
	v_add_f16_e32 v48, v51, v48
	v_mul_f16_e32 v51, 0x3beb, v26
	v_add_f16_e32 v12, v12, v14
	v_fma_f16 v14, v29, s8, v15
	v_fma_f16 v52, v45, s7, v51
	v_add_f16_e32 v12, v14, v12
	v_fma_f16 v14, v39, s16, -v47
	v_add_f16_e32 v48, v52, v48
	v_mul_f16_e32 v52, 0x3853, v27
	v_fma_f16 v15, v41, s8, -v49
	v_add_f16_sdwa v14, v8, v14 dst_sel:DWORD dst_unused:UNUSED_PAD src0_sel:WORD_1 src1_sel:DWORD
	v_fma_f16 v53, v46, s15, v52
	v_add_f16_e32 v14, v15, v14
	v_fma_f16 v15, v43, s17, -v50
	v_add_f16_e32 v48, v53, v48
	s_mov_b32 s19, 0xbb47
	v_mul_f16_sdwa v53, v22, s18 dst_sel:DWORD dst_unused:UNUSED_PAD src0_sel:WORD_1 src1_sel:DWORD
	v_add_f16_e32 v14, v15, v14
	v_fma_f16 v16, v45, s7, -v51
	s_mov_b32 s18, 0x3abb36a6
	v_mul_f16_sdwa v55, v20, s19 dst_sel:DWORD dst_unused:UNUSED_PAD src0_sel:WORD_1 src1_sel:DWORD
	v_fma_f16 v38, v39, s7, -v38
	v_add_f16_e32 v14, v16, v14
	v_pk_mul_f16 v16, v25, s18
	s_mov_b32 s19, 0xbb47b853
	s_mov_b32 s18, 0x36a6b93d
	v_fma_f16 v17, v46, s15, -v52
	v_add_f16_sdwa v38, v8, v38 dst_sel:DWORD dst_unused:UNUSED_PAD src0_sel:WORD_1 src1_sel:DWORD
	v_fma_f16 v40, v41, s17, -v40
	v_pk_mul_f16 v39, v24, s18
	s_mov_b32 s20, 0xba0cbb47
	v_add_f16_e32 v14, v17, v14
	v_pk_fma_f16 v17, v22, s19, v16 op_sel:[0,0,1] op_sel_hi:[1,1,0]
	v_pk_add_f16 v9, v9, v10
	v_add_f16_e32 v38, v40, v38
	v_fma_f16 v40, v43, s16, -v42
	v_pk_add_f16 v9, v9, v11
	v_alignbit_b32 v10, s0, v17, 16
	v_pk_fma_f16 v11, v20, s20, v39 op_sel:[0,0,1] op_sel_hi:[1,1,0]
	v_add_f16_e32 v38, v40, v38
	v_pk_add_f16 v10, v8, v10
	v_alignbit_b32 v40, s0, v11, 16
	s_mov_b32 s18, 0xb08ebbad
	v_fma_f16 v54, v25, s15, -v53
	v_pk_add_f16 v10, v40, v10
	s_mov_b32 s21, 0x3482bbeb
	v_pk_mul_f16 v40, v23, s18
	v_add_f16_e32 v54, v8, v54
	v_fma_f16 v56, v24, s16, -v55
	v_pk_fma_f16 v41, v21, s21, v40 op_sel:[0,0,1] op_sel_hi:[1,1,0]
	v_add_f16_e32 v54, v56, v54
	v_mul_f16_sdwa v56, v21, s1 dst_sel:DWORD dst_unused:UNUSED_PAD src0_sel:WORD_1 src1_sel:DWORD
	v_alignbit_b32 v42, s0, v41, 16
	v_fma_f16 v57, v23, s7, -v56
	v_pk_add_f16 v10, v42, v10
	v_fma_f16 v42, v25, s15, v53
	v_add_f16_e32 v54, v57, v54
	v_mul_f16_sdwa v57, v26, s6 dst_sel:DWORD dst_unused:UNUSED_PAD src0_sel:WORD_1 src1_sel:DWORD
	v_add_f16_e32 v42, v8, v42
	v_fma_f16 v43, v24, s16, v55
	v_fma_f16 v58, v28, s8, -v57
	v_add_f16_e32 v42, v43, v42
	v_fma_f16 v43, v23, s7, v56
	v_add_f16_e32 v54, v58, v54
	v_mul_f16_sdwa v58, v27, s9 dst_sel:DWORD dst_unused:UNUSED_PAD src0_sel:WORD_1 src1_sel:DWORD
	v_add_f16_e32 v42, v43, v42
	v_fma_f16 v43, v28, s8, v57
	v_pk_fma_f16 v16, v22, s19, v16 op_sel:[0,0,1] op_sel_hi:[1,1,0] neg_lo:[1,0,0] neg_hi:[1,0,0]
	v_fma_f16 v15, v45, s15, -v44
	v_add_f16_e32 v42, v43, v42
	s_mov_b32 s22, 0xb93db08e
	v_fma_f16 v44, v29, s17, v58
	v_pk_fma_f16 v39, v20, s20, v39 op_sel:[0,0,1] op_sel_hi:[1,1,0] neg_lo:[1,0,0] neg_hi:[1,0,0]
	v_bfi_b32 v17, s0, v17, v16
	v_add_f16_sdwa v16, v8, v16 dst_sel:DWORD dst_unused:UNUSED_PAD src0_sel:WORD_1 src1_sel:DWORD
	v_add_f16_e32 v42, v44, v42
	v_pk_mul_f16 v44, v28, s22
	s_mov_b32 s22, 0x3bebba0c
	v_add_f16_e32 v16, v39, v16
	v_bfi_b32 v11, s0, v11, v39
	v_pk_add_f16 v17, v8, v17 op_sel:[1,0] op_sel_hi:[0,1]
	v_pk_fma_f16 v40, v21, s21, v40 op_sel:[0,0,1] op_sel_hi:[1,1,0] neg_lo:[1,0,0] neg_hi:[1,0,0]
	s_mov_b32 s23, 0xbbad3abb
	v_pk_add_f16 v11, v11, v17
	v_pk_fma_f16 v17, v26, s22, v44 op_sel:[0,0,1] op_sel_hi:[1,1,0]
	v_add_f16_e32 v16, v40, v16
	v_bfi_b32 v40, s0, v41, v40
	v_pk_fma_f16 v44, v26, s22, v44 op_sel:[0,0,1] op_sel_hi:[1,1,0] neg_lo:[1,0,0] neg_hi:[1,0,0]
	v_pk_add_f16 v9, v9, v37
	v_pk_mul_f16 v37, v29, s23
	s_mov_b32 s23, 0x3853b482
	v_pk_add_f16 v11, v40, v11
	v_add_f16_e32 v16, v44, v16
	v_bfi_b32 v44, s0, v17, v44
	v_pk_fma_f16 v40, v27, s23, v37 op_sel:[0,0,1] op_sel_hi:[1,1,0] neg_lo:[1,0,0] neg_hi:[1,0,0]
	v_pk_add_f16 v11, v44, v11
	v_pk_fma_f16 v44, v27, s23, v37 op_sel:[0,0,1] op_sel_hi:[1,1,0]
	v_fma_f16 v59, v29, s17, -v58
	v_add_f16_e32 v16, v40, v16
	v_bfi_b32 v40, s0, v44, v40
	v_add_f16_e32 v54, v59, v54
	v_pk_add_f16 v11, v40, v11
	v_mad_u32_u24 v44, v5, 40, v0
	v_alignbit_b32 v40, v48, v11, 16
	v_pack_b32_f16 v11, v54, v11
	ds_write2_b32 v44, v11, v40 offset0:1 offset1:2
	v_pk_add_f16 v11, v8, v34
	v_pk_add_f16 v11, v35, v11
	v_pk_add_f16 v11, v33, v11
	v_pk_add_f16 v11, v32, v11
	v_pk_add_f16 v11, v31, v11
	v_pack_b32_f16 v13, v13, v36
	ds_write2_b32 v44, v13, v11 offset0:3 offset1:4
	v_pk_mul_f16 v11, v25, s17 op_sel_hi:[1,0]
	s_movk_i32 s18, 0x3853
	v_alignbit_b32 v41, s0, v8, 16
	v_pk_fma_f16 v13, v22, s9, v11 op_sel:[0,0,1] op_sel_hi:[1,0,0] neg_lo:[1,0,0] neg_hi:[1,0,0]
	v_pk_mul_f16 v24, v24, s15 op_sel_hi:[1,0]
	v_pk_add_f16 v25, v41, v13
	v_pk_fma_f16 v31, v20, s18, v24 op_sel:[0,0,1] op_sel_hi:[1,0,0] neg_lo:[1,0,0] neg_hi:[1,0,0]
	v_pk_mul_f16 v23, v23, s8 op_sel_hi:[1,0]
	v_pk_fma_f16 v11, v22, s9, v11 op_sel:[0,0,1] op_sel_hi:[1,0,0]
	v_alignbit_b32 v13, s0, v13, 16
	v_pk_fma_f16 v32, v21, s6, v23 op_sel:[0,0,1] op_sel_hi:[1,0,0] neg_lo:[1,0,0] neg_hi:[1,0,0]
	v_pk_mul_f16 v28, v28, s16 op_sel_hi:[1,0]
	v_pk_add_f16 v11, v8, v11 op_sel:[1,0] op_sel_hi:[0,1]
	v_pk_fma_f16 v20, v20, s18, v24 op_sel:[0,0,1] op_sel_hi:[1,0,0]
	v_pk_add_f16 v8, v8, v13
	v_alignbit_b32 v13, s0, v31, 16
	v_pk_add_f16 v25, v31, v25
	v_pk_fma_f16 v33, v26, s14, v28 op_sel:[0,0,1] op_sel_hi:[1,0,0] neg_lo:[1,0,0] neg_hi:[1,0,0]
	v_pk_mul_f16 v29, v29, s7 op_sel_hi:[1,0]
	v_pk_add_f16 v11, v20, v11
	v_pk_fma_f16 v20, v21, s6, v23 op_sel:[0,0,1] op_sel_hi:[1,0,0]
	v_pk_add_f16 v8, v13, v8
	v_alignbit_b32 v13, s0, v32, 16
	v_pk_add_f16 v25, v32, v25
	v_pk_fma_f16 v34, v27, s1, v29 op_sel:[0,0,1] op_sel_hi:[1,0,0] neg_lo:[1,0,0] neg_hi:[1,0,0]
	v_pk_add_f16 v11, v20, v11
	v_pk_fma_f16 v20, v26, s14, v28 op_sel:[0,0,1] op_sel_hi:[1,0,0]
	v_pk_add_f16 v8, v13, v8
	v_alignbit_b32 v13, s0, v33, 16
	v_pk_add_f16 v25, v33, v25
	v_pk_add_f16 v11, v20, v11
	v_pk_fma_f16 v20, v27, s1, v29 op_sel:[0,0,1] op_sel_hi:[1,0,0]
	v_pk_add_f16 v8, v13, v8
	v_alignbit_b32 v13, s0, v34, 16
	v_pk_add_f16 v25, v34, v25
	v_pk_add_f16 v11, v20, v11
	;; [unrolled: 1-line block ×3, first 2 shown]
	v_alignbit_b32 v13, v25, v11, 16
	v_pack_b32_f16 v8, v8, v11
	s_mov_b32 s1, 0x5040100
	ds_write2_b32 v44, v8, v13 offset0:5 offset1:6
	v_perm_b32 v8, v18, v7, s1
	v_mul_f16_e32 v43, 0xba0c, v27
	ds_write2_b32 v44, v9, v8 offset1:7
	v_lshlrev_b32_e32 v8, 16, v10
	v_pk_mul_f16 v39, v27, s23
	v_pk_add_f16 v9, v30, v43 neg_lo:[0,1] neg_hi:[0,1]
	v_pk_add_f16 v8, v17, v8
	v_bfi_b32 v8, s0, v9, v8
	v_pack_b32_f16 v9, v15, v37
	v_bfi_b32 v10, s0, v38, v39
	v_pk_add_f16 v9, v9, v10
	v_pk_add_f16 v8, v8, v9
	v_alignbit_b32 v9, v14, v8, 16
	v_pack_b32_f16 v8, v12, v8
	ds_write2_b32 v44, v8, v9 offset0:8 offset1:9
	v_pack_b32_f16 v8, v42, v16
	ds_write_b32 v44, v8 offset:40
.LBB0_23:
	s_or_b64 exec, exec, s[4:5]
	s_movk_i32 s0, 0x75
	v_mul_lo_u16_sdwa v8, v5, s0 dst_sel:DWORD dst_unused:UNUSED_PAD src0_sel:BYTE_0 src1_sel:DWORD
	v_sub_u16_sdwa v9, v5, v8 dst_sel:DWORD dst_unused:UNUSED_PAD src0_sel:DWORD src1_sel:BYTE_1
	v_lshrrev_b16_e32 v9, 1, v9
	v_and_b32_e32 v9, 0x7f, v9
	v_add_u16_sdwa v8, v9, v8 dst_sel:DWORD dst_unused:UNUSED_PAD src0_sel:DWORD src1_sel:BYTE_1
	v_lshrrev_b16_e32 v22, 3, v8
	v_mul_lo_u16_e32 v8, 11, v22
	v_sub_u16_e32 v23, v5, v8
	v_mov_b32_e32 v8, 6
	v_mul_u32_u24_sdwa v8, v23, v8 dst_sel:DWORD dst_unused:UNUSED_PAD src0_sel:BYTE_0 src1_sel:DWORD
	v_lshlrev_b32_e32 v14, 2, v8
	s_waitcnt lgkmcnt(0)
	s_barrier
	global_load_dwordx4 v[8:11], v14, s[12:13]
	global_load_dwordx2 v[12:13], v14, s[12:13] offset:16
	ds_read2_b32 v[14:15], v0 offset1:88
	ds_read2_b32 v[16:17], v6 offset0:48 offset1:136
	ds_read2_b32 v[19:20], v19 offset0:96 offset1:184
	ds_read_b32 v6, v0 offset:2112
	s_movk_i32 s0, 0x2b26
	s_waitcnt lgkmcnt(3)
	v_lshrrev_b32_e32 v21, 16, v15
	s_waitcnt lgkmcnt(2)
	v_lshrrev_b32_e32 v24, 16, v16
	v_lshrrev_b32_e32 v25, 16, v17
	s_waitcnt lgkmcnt(1)
	v_lshrrev_b32_e32 v26, 16, v19
	;; [unrolled: 3-line block ×3, first 2 shown]
	s_movk_i32 s1, 0x3b00
	s_mov_b32 s4, 0xbcab
	v_mul_u32_u24_e32 v22, 0x134, v22
	s_waitcnt vmcnt(0)
	s_barrier
	v_mul_f16_sdwa v29, v8, v21 dst_sel:DWORD dst_unused:UNUSED_PAD src0_sel:WORD_1 src1_sel:DWORD
	v_mul_f16_sdwa v30, v8, v15 dst_sel:DWORD dst_unused:UNUSED_PAD src0_sel:WORD_1 src1_sel:DWORD
	v_mul_f16_sdwa v31, v9, v24 dst_sel:DWORD dst_unused:UNUSED_PAD src0_sel:WORD_1 src1_sel:DWORD
	v_mul_f16_sdwa v32, v9, v16 dst_sel:DWORD dst_unused:UNUSED_PAD src0_sel:WORD_1 src1_sel:DWORD
	v_mul_f16_sdwa v33, v10, v25 dst_sel:DWORD dst_unused:UNUSED_PAD src0_sel:WORD_1 src1_sel:DWORD
	v_mul_f16_sdwa v34, v10, v17 dst_sel:DWORD dst_unused:UNUSED_PAD src0_sel:WORD_1 src1_sel:DWORD
	v_mul_f16_sdwa v35, v11, v26 dst_sel:DWORD dst_unused:UNUSED_PAD src0_sel:WORD_1 src1_sel:DWORD
	v_mul_f16_sdwa v36, v11, v19 dst_sel:DWORD dst_unused:UNUSED_PAD src0_sel:WORD_1 src1_sel:DWORD
	v_mul_f16_sdwa v37, v12, v27 dst_sel:DWORD dst_unused:UNUSED_PAD src0_sel:WORD_1 src1_sel:DWORD
	v_mul_f16_sdwa v38, v12, v20 dst_sel:DWORD dst_unused:UNUSED_PAD src0_sel:WORD_1 src1_sel:DWORD
	v_mul_f16_sdwa v39, v13, v28 dst_sel:DWORD dst_unused:UNUSED_PAD src0_sel:WORD_1 src1_sel:DWORD
	v_mul_f16_sdwa v40, v13, v6 dst_sel:DWORD dst_unused:UNUSED_PAD src0_sel:WORD_1 src1_sel:DWORD
	v_fma_f16 v15, v8, v15, -v29
	v_fma_f16 v8, v8, v21, v30
	v_fma_f16 v16, v9, v16, -v31
	v_fma_f16 v9, v9, v24, v32
	;; [unrolled: 2-line block ×6, first 2 shown]
	v_add_f16_e32 v21, v15, v6
	v_add_f16_e32 v24, v8, v13
	v_sub_f16_e32 v6, v15, v6
	v_sub_f16_e32 v8, v8, v13
	v_add_f16_e32 v13, v16, v20
	v_add_f16_e32 v15, v9, v12
	v_sub_f16_e32 v16, v16, v20
	v_sub_f16_e32 v9, v9, v12
	;; [unrolled: 4-line block ×4, first 2 shown]
	v_sub_f16_e32 v21, v21, v12
	v_sub_f16_e32 v24, v24, v20
	;; [unrolled: 1-line block ×4, first 2 shown]
	v_add_f16_e32 v27, v17, v16
	v_add_f16_e32 v11, v12, v11
	;; [unrolled: 1-line block ×3, first 2 shown]
	v_mul_f16_e32 v20, 0x3a52, v21
	v_mul_f16_e32 v21, 0x3a52, v24
	v_sub_f16_e32 v29, v17, v16
	v_sub_f16_e32 v17, v6, v17
	v_sub_f16_e32 v16, v16, v6
	v_add_f16_e32 v6, v27, v6
	v_mul_f16_e32 v24, 0x2b26, v13
	v_mul_f16_e32 v27, 0x2b26, v15
	v_fma_f16 v13, v13, s0, v20
	v_fma_f16 v15, v15, s0, v21
	s_movk_i32 s0, 0x39e0
	v_add_f16_e32 v28, v10, v9
	v_sub_f16_e32 v30, v10, v9
	v_fma_f16 v24, v25, s0, -v24
	v_fma_f16 v27, v26, s0, -v27
	s_mov_b32 s0, 0xb9e0
	v_sub_f16_e32 v10, v8, v10
	v_sub_f16_e32 v9, v9, v8
	v_add_f16_e32 v19, v28, v8
	v_mul_f16_e32 v28, 0xb846, v29
	v_mul_f16_e32 v29, 0xb846, v30
	v_fma_f16 v20, v25, s0, -v20
	v_fma_f16 v21, v26, s0, -v21
	s_movk_i32 s0, 0x3574
	v_mul_f16_e32 v30, 0x3b00, v16
	v_mul_f16_e32 v31, 0x3b00, v9
	v_add_f16_e32 v8, v11, v14
	v_add_f16_sdwa v14, v12, v14 dst_sel:DWORD dst_unused:UNUSED_PAD src0_sel:DWORD src1_sel:WORD_1
	v_fma_f16 v25, v17, s0, v28
	v_fma_f16 v26, v10, s0, v29
	s_mov_b32 s0, 0xb574
	v_fma_f16 v11, v11, s4, v8
	v_fma_f16 v12, v12, s4, v14
	v_fma_f16 v16, v16, s1, -v28
	v_fma_f16 v17, v17, s0, -v30
	;; [unrolled: 1-line block ×3, first 2 shown]
	s_movk_i32 s0, 0x370e
	v_fma_f16 v9, v9, s1, -v29
	v_add_f16_e32 v28, v13, v11
	v_add_f16_e32 v13, v24, v11
	;; [unrolled: 1-line block ×3, first 2 shown]
	v_fma_f16 v16, v6, s0, v16
	v_add_f16_e32 v29, v15, v12
	v_add_f16_e32 v21, v21, v12
	v_fma_f16 v25, v6, s0, v25
	v_fma_f16 v26, v19, s0, v26
	;; [unrolled: 1-line block ×4, first 2 shown]
	v_add_f16_e32 v19, v16, v24
	v_sub_f16_e32 v16, v24, v16
	v_mov_b32_e32 v24, 2
	v_add_f16_e32 v20, v20, v11
	v_fma_f16 v6, v6, s0, v17
	v_add_f16_e32 v9, v26, v28
	v_sub_f16_e32 v15, v29, v25
	v_lshlrev_b32_sdwa v23, v24, v23 dst_sel:DWORD dst_unused:UNUSED_PAD src0_sel:DWORD src1_sel:BYTE_0
	v_add_f16_e32 v10, v27, v20
	v_sub_f16_e32 v17, v21, v6
	v_sub_f16_e32 v11, v13, v12
	v_add3_u32 v22, 0, v22, v23
	v_pack_b32_f16 v23, v8, v14
	v_pack_b32_f16 v24, v9, v15
	v_add_f16_e32 v12, v12, v13
	v_sub_f16_e32 v13, v20, v27
	v_add_f16_e32 v20, v6, v21
	ds_write2_b32 v22, v23, v24 offset1:11
	v_pack_b32_f16 v23, v10, v17
	v_pack_b32_f16 v24, v11, v19
	v_sub_f16_e32 v6, v28, v26
	v_add_f16_e32 v21, v25, v29
	ds_write2_b32 v22, v23, v24 offset0:22 offset1:33
	v_pack_b32_f16 v23, v12, v16
	v_pack_b32_f16 v24, v13, v20
	s_movk_i32 s0, 0x4d
	ds_write2_b32 v22, v23, v24 offset0:44 offset1:55
	v_pack_b32_f16 v23, v6, v21
	v_cmp_gt_u32_e64 s[0:1], s0, v5
	ds_write_b32 v22, v23 offset:264
	s_waitcnt lgkmcnt(0)
	s_barrier
	s_and_saveexec_b64 s[4:5], s[0:1]
	s_cbranch_execz .LBB0_25
; %bb.24:
	v_add_u32_e32 v6, 0x400, v0
	v_add_u32_e32 v7, 0x600, v0
	ds_read2_b32 v[8:9], v0 offset1:77
	ds_read2_b32 v[10:11], v0 offset0:154 offset1:231
	ds_read2_b32 v[12:13], v6 offset0:52 offset1:129
	ds_read2_b32 v[6:7], v7 offset0:78 offset1:155
	s_waitcnt lgkmcnt(3)
	v_lshrrev_b32_e32 v14, 16, v8
	v_lshrrev_b32_e32 v15, 16, v9
	s_waitcnt lgkmcnt(2)
	v_lshrrev_b32_e32 v17, 16, v10
	v_lshrrev_b32_e32 v19, 16, v11
	;; [unrolled: 3-line block ×4, first 2 shown]
.LBB0_25:
	s_or_b64 exec, exec, s[4:5]
	s_barrier
	s_and_saveexec_b64 s[4:5], s[0:1]
	s_cbranch_execz .LBB0_27
; %bb.26:
	v_add_u32_e32 v22, 0xffffffb3, v5
	v_cndmask_b32_e64 v22, v22, v5, s[0:1]
	v_mul_i32_i24_e32 v22, 7, v22
	v_mov_b32_e32 v23, 0
	v_lshlrev_b64 v[22:23], 2, v[22:23]
	v_mov_b32_e32 v24, s13
	v_add_co_u32_e64 v29, s[0:1], s12, v22
	v_addc_co_u32_e64 v30, s[0:1], v24, v23, s[0:1]
	global_load_dwordx4 v[22:25], v[29:30], off offset:264
	global_load_dwordx3 v[26:28], v[29:30], off offset:280
	s_movk_i32 s0, 0x39a8
	s_mov_b32 s1, 0xb9a8
	s_waitcnt vmcnt(1)
	v_mul_f16_sdwa v29, v16, v25 dst_sel:DWORD dst_unused:UNUSED_PAD src0_sel:DWORD src1_sel:WORD_1
	v_mul_f16_sdwa v30, v10, v23 dst_sel:DWORD dst_unused:UNUSED_PAD src0_sel:DWORD src1_sel:WORD_1
	s_waitcnt vmcnt(0)
	v_mul_f16_sdwa v31, v6, v27 dst_sel:DWORD dst_unused:UNUSED_PAD src0_sel:DWORD src1_sel:WORD_1
	v_mul_f16_sdwa v32, v15, v22 dst_sel:DWORD dst_unused:UNUSED_PAD src0_sel:DWORD src1_sel:WORD_1
	;; [unrolled: 1-line block ×12, first 2 shown]
	v_fma_f16 v12, v12, v25, -v29
	v_fma_f16 v17, v17, v23, v30
	v_fma_f16 v21, v21, v27, v31
	v_fma_f16 v9, v9, v22, -v32
	v_fma_f16 v13, v13, v26, -v33
	v_fma_f16 v19, v19, v24, v34
	v_fma_f16 v18, v18, v28, v35
	;; [unrolled: 1-line block ×4, first 2 shown]
	v_fma_f16 v11, v11, v24, -v38
	v_fma_f16 v7, v7, v28, -v39
	v_fma_f16 v16, v16, v25, v40
	v_fma_f16 v10, v10, v23, -v41
	v_fma_f16 v6, v6, v27, -v42
	v_sub_f16_e32 v12, v8, v12
	v_sub_f16_e32 v21, v17, v21
	;; [unrolled: 1-line block ×10, first 2 shown]
	v_add_f16_e32 v24, v20, v7
	v_add_f16_e32 v25, v16, v6
	v_fma_f16 v8, v8, 2.0, -v12
	v_fma_f16 v6, v10, 2.0, -v6
	;; [unrolled: 1-line block ×8, first 2 shown]
	v_fma_f16 v11, v23, s0, v22
	v_fma_f16 v18, v24, s0, v25
	v_sub_f16_e32 v6, v8, v6
	v_sub_f16_e32 v15, v10, v15
	;; [unrolled: 1-line block ×4, first 2 shown]
	v_fma_f16 v12, v12, 2.0, -v22
	v_fma_f16 v13, v13, 2.0, -v23
	;; [unrolled: 1-line block ×4, first 2 shown]
	v_fma_f16 v11, v24, s1, v11
	v_fma_f16 v18, v23, s0, v18
	v_add_f16_e32 v21, v17, v7
	v_fma_f16 v23, v13, s1, v12
	v_fma_f16 v24, v19, s1, v16
	v_fma_f16 v8, v8, 2.0, -v6
	v_fma_f16 v7, v9, 2.0, -v7
	;; [unrolled: 1-line block ×4, first 2 shown]
	v_fma_f16 v19, v19, s1, v23
	v_fma_f16 v13, v13, s0, v24
	v_sub_f16_e32 v7, v8, v7
	v_sub_f16_e32 v10, v9, v10
	;; [unrolled: 1-line block ×3, first 2 shown]
	v_fma_f16 v12, v12, 2.0, -v19
	v_fma_f16 v16, v16, 2.0, -v13
	v_fma_f16 v8, v8, 2.0, -v7
	v_fma_f16 v9, v9, 2.0, -v10
	v_fma_f16 v14, v22, 2.0, -v11
	v_fma_f16 v15, v25, 2.0, -v18
	v_fma_f16 v6, v6, 2.0, -v20
	v_fma_f16 v17, v17, 2.0, -v21
	v_pack_b32_f16 v8, v8, v9
	v_pack_b32_f16 v9, v12, v16
	ds_write2_b32 v0, v8, v9 offset1:77
	v_pack_b32_f16 v6, v6, v17
	v_pack_b32_f16 v8, v14, v15
	ds_write2_b32 v0, v6, v8 offset0:154 offset1:231
	v_pack_b32_f16 v6, v7, v10
	v_pack_b32_f16 v7, v19, v13
	v_add_u32_e32 v8, 0x400, v0
	ds_write2_b32 v8, v6, v7 offset0:52 offset1:129
	v_pack_b32_f16 v6, v20, v21
	v_pack_b32_f16 v7, v11, v18
	v_add_u32_e32 v0, 0x600, v0
	ds_write2_b32 v0, v6, v7 offset0:78 offset1:155
.LBB0_27:
	s_or_b64 exec, exec, s[4:5]
	s_waitcnt lgkmcnt(0)
	s_barrier
	s_and_saveexec_b64 s[0:1], vcc
	s_cbranch_execz .LBB0_29
; %bb.28:
	v_mul_lo_u32 v0, s3, v3
	v_mul_lo_u32 v6, s2, v4
	v_mad_u64_u32 v[3:4], s[0:1], s2, v3, 0
	v_lshl_add_u32 v9, v5, 2, 0
	ds_read2_b32 v[7:8], v9 offset1:88
	v_add3_u32 v4, v4, v6, v0
	v_lshlrev_b64 v[3:4], 2, v[3:4]
	v_mov_b32_e32 v0, s11
	v_add_co_u32_e32 v3, vcc, s10, v3
	v_addc_co_u32_e32 v4, vcc, v0, v4, vcc
	v_lshlrev_b64 v[0:1], 2, v[1:2]
	v_mov_b32_e32 v6, 0
	v_add_co_u32_e32 v10, vcc, v3, v0
	v_addc_co_u32_e32 v4, vcc, v4, v1, vcc
	v_lshlrev_b64 v[0:1], 2, v[5:6]
	v_add_u32_e32 v2, 0x200, v9
	v_add_co_u32_e32 v0, vcc, v10, v0
	v_addc_co_u32_e32 v1, vcc, v4, v1, vcc
	s_waitcnt lgkmcnt(0)
	global_store_dword v[0:1], v7, off
	v_add_u32_e32 v0, 0x58, v5
	v_mov_b32_e32 v1, v6
	v_lshlrev_b64 v[0:1], 2, v[0:1]
	ds_read2_b32 v[2:3], v2 offset0:48 offset1:136
	v_add_co_u32_e32 v0, vcc, v10, v0
	v_addc_co_u32_e32 v1, vcc, v4, v1, vcc
	global_store_dword v[0:1], v8, off
	v_add_u32_e32 v0, 0xb0, v5
	v_mov_b32_e32 v1, v6
	v_lshlrev_b64 v[0:1], 2, v[0:1]
	v_add_co_u32_e32 v0, vcc, v10, v0
	v_addc_co_u32_e32 v1, vcc, v4, v1, vcc
	s_waitcnt lgkmcnt(0)
	global_store_dword v[0:1], v2, off
	v_add_u32_e32 v0, 0x108, v5
	v_mov_b32_e32 v1, v6
	v_lshlrev_b64 v[0:1], 2, v[0:1]
	v_add_u32_e32 v2, 0x400, v9
	v_add_co_u32_e32 v0, vcc, v10, v0
	v_addc_co_u32_e32 v1, vcc, v4, v1, vcc
	global_store_dword v[0:1], v3, off
	v_add_u32_e32 v0, 0x160, v5
	v_mov_b32_e32 v1, v6
	ds_read2_b32 v[2:3], v2 offset0:96 offset1:184
	v_lshlrev_b64 v[0:1], 2, v[0:1]
	v_add_co_u32_e32 v0, vcc, v10, v0
	v_addc_co_u32_e32 v1, vcc, v4, v1, vcc
	s_waitcnt lgkmcnt(0)
	global_store_dword v[0:1], v2, off
	v_add_u32_e32 v0, 0x1b8, v5
	v_mov_b32_e32 v1, v6
	v_lshlrev_b64 v[0:1], 2, v[0:1]
	v_add_u32_e32 v5, 0x210, v5
	v_add_co_u32_e32 v0, vcc, v10, v0
	v_addc_co_u32_e32 v1, vcc, v4, v1, vcc
	ds_read_b32 v2, v9 offset:2112
	global_store_dword v[0:1], v3, off
	v_lshlrev_b64 v[0:1], 2, v[5:6]
	v_add_co_u32_e32 v0, vcc, v10, v0
	v_addc_co_u32_e32 v1, vcc, v4, v1, vcc
	s_waitcnt lgkmcnt(0)
	global_store_dword v[0:1], v2, off
.LBB0_29:
	s_endpgm
	.section	.rodata,"a",@progbits
	.p2align	6, 0x0
	.amdhsa_kernel fft_rtc_fwd_len616_factors_11_7_8_wgs_88_tpt_88_half_op_CI_CI_unitstride_sbrr_C2R_dirReg
		.amdhsa_group_segment_fixed_size 0
		.amdhsa_private_segment_fixed_size 0
		.amdhsa_kernarg_size 104
		.amdhsa_user_sgpr_count 6
		.amdhsa_user_sgpr_private_segment_buffer 1
		.amdhsa_user_sgpr_dispatch_ptr 0
		.amdhsa_user_sgpr_queue_ptr 0
		.amdhsa_user_sgpr_kernarg_segment_ptr 1
		.amdhsa_user_sgpr_dispatch_id 0
		.amdhsa_user_sgpr_flat_scratch_init 0
		.amdhsa_user_sgpr_private_segment_size 0
		.amdhsa_uses_dynamic_stack 0
		.amdhsa_system_sgpr_private_segment_wavefront_offset 0
		.amdhsa_system_sgpr_workgroup_id_x 1
		.amdhsa_system_sgpr_workgroup_id_y 0
		.amdhsa_system_sgpr_workgroup_id_z 0
		.amdhsa_system_sgpr_workgroup_info 0
		.amdhsa_system_vgpr_workitem_id 0
		.amdhsa_next_free_vgpr 60
		.amdhsa_next_free_sgpr 28
		.amdhsa_reserve_vcc 1
		.amdhsa_reserve_flat_scratch 0
		.amdhsa_float_round_mode_32 0
		.amdhsa_float_round_mode_16_64 0
		.amdhsa_float_denorm_mode_32 3
		.amdhsa_float_denorm_mode_16_64 3
		.amdhsa_dx10_clamp 1
		.amdhsa_ieee_mode 1
		.amdhsa_fp16_overflow 0
		.amdhsa_exception_fp_ieee_invalid_op 0
		.amdhsa_exception_fp_denorm_src 0
		.amdhsa_exception_fp_ieee_div_zero 0
		.amdhsa_exception_fp_ieee_overflow 0
		.amdhsa_exception_fp_ieee_underflow 0
		.amdhsa_exception_fp_ieee_inexact 0
		.amdhsa_exception_int_div_zero 0
	.end_amdhsa_kernel
	.text
.Lfunc_end0:
	.size	fft_rtc_fwd_len616_factors_11_7_8_wgs_88_tpt_88_half_op_CI_CI_unitstride_sbrr_C2R_dirReg, .Lfunc_end0-fft_rtc_fwd_len616_factors_11_7_8_wgs_88_tpt_88_half_op_CI_CI_unitstride_sbrr_C2R_dirReg
                                        ; -- End function
	.section	.AMDGPU.csdata,"",@progbits
; Kernel info:
; codeLenInByte = 6768
; NumSgprs: 32
; NumVgprs: 60
; ScratchSize: 0
; MemoryBound: 0
; FloatMode: 240
; IeeeMode: 1
; LDSByteSize: 0 bytes/workgroup (compile time only)
; SGPRBlocks: 3
; VGPRBlocks: 14
; NumSGPRsForWavesPerEU: 32
; NumVGPRsForWavesPerEU: 60
; Occupancy: 4
; WaveLimiterHint : 1
; COMPUTE_PGM_RSRC2:SCRATCH_EN: 0
; COMPUTE_PGM_RSRC2:USER_SGPR: 6
; COMPUTE_PGM_RSRC2:TRAP_HANDLER: 0
; COMPUTE_PGM_RSRC2:TGID_X_EN: 1
; COMPUTE_PGM_RSRC2:TGID_Y_EN: 0
; COMPUTE_PGM_RSRC2:TGID_Z_EN: 0
; COMPUTE_PGM_RSRC2:TIDIG_COMP_CNT: 0
	.type	__hip_cuid_606acff95acd4eaa,@object ; @__hip_cuid_606acff95acd4eaa
	.section	.bss,"aw",@nobits
	.globl	__hip_cuid_606acff95acd4eaa
__hip_cuid_606acff95acd4eaa:
	.byte	0                               ; 0x0
	.size	__hip_cuid_606acff95acd4eaa, 1

	.ident	"AMD clang version 19.0.0git (https://github.com/RadeonOpenCompute/llvm-project roc-6.4.0 25133 c7fe45cf4b819c5991fe208aaa96edf142730f1d)"
	.section	".note.GNU-stack","",@progbits
	.addrsig
	.addrsig_sym __hip_cuid_606acff95acd4eaa
	.amdgpu_metadata
---
amdhsa.kernels:
  - .args:
      - .actual_access:  read_only
        .address_space:  global
        .offset:         0
        .size:           8
        .value_kind:     global_buffer
      - .offset:         8
        .size:           8
        .value_kind:     by_value
      - .actual_access:  read_only
        .address_space:  global
        .offset:         16
        .size:           8
        .value_kind:     global_buffer
      - .actual_access:  read_only
        .address_space:  global
        .offset:         24
        .size:           8
        .value_kind:     global_buffer
      - .actual_access:  read_only
        .address_space:  global
        .offset:         32
        .size:           8
        .value_kind:     global_buffer
      - .offset:         40
        .size:           8
        .value_kind:     by_value
      - .actual_access:  read_only
        .address_space:  global
        .offset:         48
        .size:           8
        .value_kind:     global_buffer
      - .actual_access:  read_only
        .address_space:  global
        .offset:         56
        .size:           8
        .value_kind:     global_buffer
      - .offset:         64
        .size:           4
        .value_kind:     by_value
      - .actual_access:  read_only
        .address_space:  global
        .offset:         72
        .size:           8
        .value_kind:     global_buffer
      - .actual_access:  read_only
        .address_space:  global
        .offset:         80
        .size:           8
        .value_kind:     global_buffer
      - .actual_access:  read_only
        .address_space:  global
        .offset:         88
        .size:           8
        .value_kind:     global_buffer
      - .actual_access:  write_only
        .address_space:  global
        .offset:         96
        .size:           8
        .value_kind:     global_buffer
    .group_segment_fixed_size: 0
    .kernarg_segment_align: 8
    .kernarg_segment_size: 104
    .language:       OpenCL C
    .language_version:
      - 2
      - 0
    .max_flat_workgroup_size: 88
    .name:           fft_rtc_fwd_len616_factors_11_7_8_wgs_88_tpt_88_half_op_CI_CI_unitstride_sbrr_C2R_dirReg
    .private_segment_fixed_size: 0
    .sgpr_count:     32
    .sgpr_spill_count: 0
    .symbol:         fft_rtc_fwd_len616_factors_11_7_8_wgs_88_tpt_88_half_op_CI_CI_unitstride_sbrr_C2R_dirReg.kd
    .uniform_work_group_size: 1
    .uses_dynamic_stack: false
    .vgpr_count:     60
    .vgpr_spill_count: 0
    .wavefront_size: 64
amdhsa.target:   amdgcn-amd-amdhsa--gfx906
amdhsa.version:
  - 1
  - 2
...

	.end_amdgpu_metadata
